;; amdgpu-corpus repo=ROCm/rocFFT kind=compiled arch=gfx1030 opt=O3
	.text
	.amdgcn_target "amdgcn-amd-amdhsa--gfx1030"
	.amdhsa_code_object_version 6
	.protected	fft_rtc_back_len624_factors_13_4_6_2_wgs_52_tpt_52_dp_op_CI_CI_unitstride_sbrr_dirReg ; -- Begin function fft_rtc_back_len624_factors_13_4_6_2_wgs_52_tpt_52_dp_op_CI_CI_unitstride_sbrr_dirReg
	.globl	fft_rtc_back_len624_factors_13_4_6_2_wgs_52_tpt_52_dp_op_CI_CI_unitstride_sbrr_dirReg
	.p2align	8
	.type	fft_rtc_back_len624_factors_13_4_6_2_wgs_52_tpt_52_dp_op_CI_CI_unitstride_sbrr_dirReg,@function
fft_rtc_back_len624_factors_13_4_6_2_wgs_52_tpt_52_dp_op_CI_CI_unitstride_sbrr_dirReg: ; @fft_rtc_back_len624_factors_13_4_6_2_wgs_52_tpt_52_dp_op_CI_CI_unitstride_sbrr_dirReg
; %bb.0:
	s_clause 0x2
	s_load_dwordx4 s[12:15], s[4:5], 0x0
	s_load_dwordx4 s[8:11], s[4:5], 0x58
	;; [unrolled: 1-line block ×3, first 2 shown]
	v_mul_u32_u24_e32 v2, 0x4ed, v0
	v_mov_b32_e32 v1, 0
	v_mov_b32_e32 v4, 0
	;; [unrolled: 1-line block ×3, first 2 shown]
	v_add_nc_u32_sdwa v6, s6, v2 dst_sel:DWORD dst_unused:UNUSED_PAD src0_sel:DWORD src1_sel:WORD_1
	v_mov_b32_e32 v7, v1
	s_waitcnt lgkmcnt(0)
	v_cmp_lt_u64_e64 s0, s[14:15], 2
	s_and_b32 vcc_lo, exec_lo, s0
	s_cbranch_vccnz .LBB0_8
; %bb.1:
	s_load_dwordx2 s[0:1], s[4:5], 0x10
	v_mov_b32_e32 v4, 0
	v_mov_b32_e32 v5, 0
	s_add_u32 s2, s18, 8
	s_addc_u32 s3, s19, 0
	s_add_u32 s6, s16, 8
	s_addc_u32 s7, s17, 0
	v_mov_b32_e32 v53, v5
	v_mov_b32_e32 v52, v4
	s_mov_b64 s[22:23], 1
	s_waitcnt lgkmcnt(0)
	s_add_u32 s20, s0, 8
	s_addc_u32 s21, s1, 0
.LBB0_2:                                ; =>This Inner Loop Header: Depth=1
	s_load_dwordx2 s[24:25], s[20:21], 0x0
                                        ; implicit-def: $vgpr54_vgpr55
	s_mov_b32 s0, exec_lo
	s_waitcnt lgkmcnt(0)
	v_or_b32_e32 v2, s25, v7
	v_cmpx_ne_u64_e32 0, v[1:2]
	s_xor_b32 s1, exec_lo, s0
	s_cbranch_execz .LBB0_4
; %bb.3:                                ;   in Loop: Header=BB0_2 Depth=1
	v_cvt_f32_u32_e32 v2, s24
	v_cvt_f32_u32_e32 v3, s25
	s_sub_u32 s0, 0, s24
	s_subb_u32 s26, 0, s25
	v_fmac_f32_e32 v2, 0x4f800000, v3
	v_rcp_f32_e32 v2, v2
	v_mul_f32_e32 v2, 0x5f7ffffc, v2
	v_mul_f32_e32 v3, 0x2f800000, v2
	v_trunc_f32_e32 v3, v3
	v_fmac_f32_e32 v2, 0xcf800000, v3
	v_cvt_u32_f32_e32 v3, v3
	v_cvt_u32_f32_e32 v2, v2
	v_mul_lo_u32 v8, s0, v3
	v_mul_hi_u32 v9, s0, v2
	v_mul_lo_u32 v10, s26, v2
	v_add_nc_u32_e32 v8, v9, v8
	v_mul_lo_u32 v9, s0, v2
	v_add_nc_u32_e32 v8, v8, v10
	v_mul_hi_u32 v10, v2, v9
	v_mul_lo_u32 v11, v2, v8
	v_mul_hi_u32 v12, v2, v8
	v_mul_hi_u32 v13, v3, v9
	v_mul_lo_u32 v9, v3, v9
	v_mul_hi_u32 v14, v3, v8
	v_mul_lo_u32 v8, v3, v8
	v_add_co_u32 v10, vcc_lo, v10, v11
	v_add_co_ci_u32_e32 v11, vcc_lo, 0, v12, vcc_lo
	v_add_co_u32 v9, vcc_lo, v10, v9
	v_add_co_ci_u32_e32 v9, vcc_lo, v11, v13, vcc_lo
	v_add_co_ci_u32_e32 v10, vcc_lo, 0, v14, vcc_lo
	v_add_co_u32 v8, vcc_lo, v9, v8
	v_add_co_ci_u32_e32 v9, vcc_lo, 0, v10, vcc_lo
	v_add_co_u32 v2, vcc_lo, v2, v8
	v_add_co_ci_u32_e32 v3, vcc_lo, v3, v9, vcc_lo
	v_mul_hi_u32 v8, s0, v2
	v_mul_lo_u32 v10, s26, v2
	v_mul_lo_u32 v9, s0, v3
	v_add_nc_u32_e32 v8, v8, v9
	v_mul_lo_u32 v9, s0, v2
	v_add_nc_u32_e32 v8, v8, v10
	v_mul_hi_u32 v10, v2, v9
	v_mul_lo_u32 v11, v2, v8
	v_mul_hi_u32 v12, v2, v8
	v_mul_hi_u32 v13, v3, v9
	v_mul_lo_u32 v9, v3, v9
	v_mul_hi_u32 v14, v3, v8
	v_mul_lo_u32 v8, v3, v8
	v_add_co_u32 v10, vcc_lo, v10, v11
	v_add_co_ci_u32_e32 v11, vcc_lo, 0, v12, vcc_lo
	v_add_co_u32 v9, vcc_lo, v10, v9
	v_add_co_ci_u32_e32 v9, vcc_lo, v11, v13, vcc_lo
	v_add_co_ci_u32_e32 v10, vcc_lo, 0, v14, vcc_lo
	v_add_co_u32 v8, vcc_lo, v9, v8
	v_add_co_ci_u32_e32 v9, vcc_lo, 0, v10, vcc_lo
	v_add_co_u32 v8, vcc_lo, v2, v8
	v_add_co_ci_u32_e32 v10, vcc_lo, v3, v9, vcc_lo
	v_mul_hi_u32 v12, v6, v8
	v_mad_u64_u32 v[8:9], null, v7, v8, 0
	v_mad_u64_u32 v[2:3], null, v6, v10, 0
	;; [unrolled: 1-line block ×3, first 2 shown]
	v_add_co_u32 v2, vcc_lo, v12, v2
	v_add_co_ci_u32_e32 v3, vcc_lo, 0, v3, vcc_lo
	v_add_co_u32 v2, vcc_lo, v2, v8
	v_add_co_ci_u32_e32 v2, vcc_lo, v3, v9, vcc_lo
	v_add_co_ci_u32_e32 v3, vcc_lo, 0, v11, vcc_lo
	v_add_co_u32 v8, vcc_lo, v2, v10
	v_add_co_ci_u32_e32 v9, vcc_lo, 0, v3, vcc_lo
	v_mul_lo_u32 v10, s25, v8
	v_mad_u64_u32 v[2:3], null, s24, v8, 0
	v_mul_lo_u32 v11, s24, v9
	v_sub_co_u32 v2, vcc_lo, v6, v2
	v_add3_u32 v3, v3, v11, v10
	v_sub_nc_u32_e32 v10, v7, v3
	v_subrev_co_ci_u32_e64 v10, s0, s25, v10, vcc_lo
	v_add_co_u32 v11, s0, v8, 2
	v_add_co_ci_u32_e64 v12, s0, 0, v9, s0
	v_sub_co_u32 v13, s0, v2, s24
	v_sub_co_ci_u32_e32 v3, vcc_lo, v7, v3, vcc_lo
	v_subrev_co_ci_u32_e64 v10, s0, 0, v10, s0
	v_cmp_le_u32_e32 vcc_lo, s24, v13
	v_cmp_eq_u32_e64 s0, s25, v3
	v_cndmask_b32_e64 v13, 0, -1, vcc_lo
	v_cmp_le_u32_e32 vcc_lo, s25, v10
	v_cndmask_b32_e64 v14, 0, -1, vcc_lo
	v_cmp_le_u32_e32 vcc_lo, s24, v2
	;; [unrolled: 2-line block ×3, first 2 shown]
	v_cndmask_b32_e64 v15, 0, -1, vcc_lo
	v_cmp_eq_u32_e32 vcc_lo, s25, v10
	v_cndmask_b32_e64 v2, v15, v2, s0
	v_cndmask_b32_e32 v10, v14, v13, vcc_lo
	v_add_co_u32 v13, vcc_lo, v8, 1
	v_add_co_ci_u32_e32 v14, vcc_lo, 0, v9, vcc_lo
	v_cmp_ne_u32_e32 vcc_lo, 0, v10
	v_cndmask_b32_e32 v3, v14, v12, vcc_lo
	v_cndmask_b32_e32 v10, v13, v11, vcc_lo
	v_cmp_ne_u32_e32 vcc_lo, 0, v2
	v_cndmask_b32_e32 v55, v9, v3, vcc_lo
	v_cndmask_b32_e32 v54, v8, v10, vcc_lo
.LBB0_4:                                ;   in Loop: Header=BB0_2 Depth=1
	s_andn2_saveexec_b32 s0, s1
	s_cbranch_execz .LBB0_6
; %bb.5:                                ;   in Loop: Header=BB0_2 Depth=1
	v_cvt_f32_u32_e32 v2, s24
	s_sub_i32 s1, 0, s24
	v_mov_b32_e32 v55, v1
	v_rcp_iflag_f32_e32 v2, v2
	v_mul_f32_e32 v2, 0x4f7ffffe, v2
	v_cvt_u32_f32_e32 v2, v2
	v_mul_lo_u32 v3, s1, v2
	v_mul_hi_u32 v3, v2, v3
	v_add_nc_u32_e32 v2, v2, v3
	v_mul_hi_u32 v2, v6, v2
	v_mul_lo_u32 v3, v2, s24
	v_add_nc_u32_e32 v8, 1, v2
	v_sub_nc_u32_e32 v3, v6, v3
	v_subrev_nc_u32_e32 v9, s24, v3
	v_cmp_le_u32_e32 vcc_lo, s24, v3
	v_cndmask_b32_e32 v3, v3, v9, vcc_lo
	v_cndmask_b32_e32 v2, v2, v8, vcc_lo
	v_cmp_le_u32_e32 vcc_lo, s24, v3
	v_add_nc_u32_e32 v8, 1, v2
	v_cndmask_b32_e32 v54, v2, v8, vcc_lo
.LBB0_6:                                ;   in Loop: Header=BB0_2 Depth=1
	s_or_b32 exec_lo, exec_lo, s0
	v_mul_lo_u32 v8, v55, s24
	v_mul_lo_u32 v9, v54, s25
	s_load_dwordx2 s[0:1], s[6:7], 0x0
	v_mad_u64_u32 v[2:3], null, v54, s24, 0
	s_load_dwordx2 s[24:25], s[2:3], 0x0
	s_add_u32 s22, s22, 1
	s_addc_u32 s23, s23, 0
	s_add_u32 s2, s2, 8
	s_addc_u32 s3, s3, 0
	s_add_u32 s6, s6, 8
	v_add3_u32 v3, v3, v9, v8
	v_sub_co_u32 v2, vcc_lo, v6, v2
	s_addc_u32 s7, s7, 0
	s_add_u32 s20, s20, 8
	v_sub_co_ci_u32_e32 v3, vcc_lo, v7, v3, vcc_lo
	s_addc_u32 s21, s21, 0
	s_waitcnt lgkmcnt(0)
	v_mul_lo_u32 v6, s0, v3
	v_mul_lo_u32 v7, s1, v2
	v_mad_u64_u32 v[4:5], null, s0, v2, v[4:5]
	v_mul_lo_u32 v3, s24, v3
	v_mul_lo_u32 v8, s25, v2
	v_mad_u64_u32 v[52:53], null, s24, v2, v[52:53]
	v_cmp_ge_u64_e64 s0, s[22:23], s[14:15]
	v_add3_u32 v5, v7, v5, v6
	v_add3_u32 v53, v8, v53, v3
	s_and_b32 vcc_lo, exec_lo, s0
	s_cbranch_vccnz .LBB0_9
; %bb.7:                                ;   in Loop: Header=BB0_2 Depth=1
	v_mov_b32_e32 v6, v54
	v_mov_b32_e32 v7, v55
	s_branch .LBB0_2
.LBB0_8:
	v_mov_b32_e32 v53, v5
	v_mov_b32_e32 v55, v7
	;; [unrolled: 1-line block ×4, first 2 shown]
.LBB0_9:
	s_load_dwordx2 s[0:1], s[4:5], 0x28
	v_mul_hi_u32 v1, 0x4ec4ec5, v0
	s_lshl_b64 s[4:5], s[14:15], 3
                                        ; implicit-def: $vgpr50_vgpr51
                                        ; implicit-def: $vgpr46_vgpr47
                                        ; implicit-def: $vgpr18_vgpr19
                                        ; implicit-def: $vgpr22_vgpr23
                                        ; implicit-def: $vgpr26_vgpr27
                                        ; implicit-def: $vgpr14_vgpr15
                                        ; implicit-def: $vgpr6_vgpr7
                                        ; implicit-def: $vgpr10_vgpr11
                                        ; implicit-def: $vgpr34_vgpr35
                                        ; implicit-def: $vgpr38_vgpr39
                                        ; implicit-def: $vgpr30_vgpr31
                                        ; implicit-def: $vgpr42_vgpr43
                                        ; implicit-def: $vgpr2_vgpr3
	s_add_u32 s2, s18, s4
	s_addc_u32 s3, s19, s5
	v_mul_u32_u24_e32 v1, 52, v1
	v_sub_nc_u32_e32 v56, v0, v1
	s_waitcnt lgkmcnt(0)
	v_cmp_gt_u64_e32 vcc_lo, s[0:1], v[54:55]
	v_cmp_gt_u32_e64 s0, 48, v56
	s_and_b32 s1, vcc_lo, s0
	s_and_saveexec_b32 s6, s1
	s_cbranch_execz .LBB0_11
; %bb.10:
	s_add_u32 s4, s16, s4
	s_addc_u32 s5, s17, s5
	v_mov_b32_e32 v57, 0
	s_load_dwordx2 s[4:5], s[4:5], 0x0
	v_lshlrev_b64 v[2:3], 4, v[4:5]
	v_or_b32_e32 v4, 0xc0, v56
	v_or_b32_e32 v8, 0x240, v56
	v_mov_b32_e32 v5, v57
	v_lshlrev_b64 v[10:11], 4, v[56:57]
	v_mov_b32_e32 v9, v57
	v_lshlrev_b64 v[4:5], 4, v[4:5]
	s_waitcnt lgkmcnt(0)
	v_mul_lo_u32 v6, s5, v54
	v_mul_lo_u32 v7, s4, v55
	v_mad_u64_u32 v[0:1], null, s4, v54, 0
	v_add3_u32 v1, v1, v7, v6
	v_or_b32_e32 v6, 0x180, v56
	v_mov_b32_e32 v7, v57
	v_lshlrev_b64 v[0:1], 4, v[0:1]
	v_add_co_u32 v12, s1, s8, v0
	v_add_co_ci_u32_e64 v13, s1, s9, v1, s1
	v_lshlrev_b64 v[0:1], 4, v[6:7]
	v_add_co_u32 v24, s1, v12, v2
	v_add_co_ci_u32_e64 v25, s1, v13, v3, s1
	;; [unrolled: 3-line block ×3, first 2 shown]
	v_add_co_u32 v4, s1, v24, v4
	v_add_co_ci_u32_e64 v5, s1, v25, v5, s1
	v_add_co_u32 v10, s1, v24, v0
	v_add_co_ci_u32_e64 v11, s1, v25, v1, s1
	;; [unrolled: 2-line block ×5, first 2 shown]
	s_clause 0x7
	global_load_dwordx4 v[0:3], v[8:9], off
	global_load_dwordx4 v[48:51], v[8:9], off offset:768
	global_load_dwordx4 v[44:47], v[8:9], off offset:1536
	;; [unrolled: 1-line block ×3, first 2 shown]
	global_load_dwordx4 v[28:31], v[4:5], off
	global_load_dwordx4 v[16:19], v[12:13], off offset:1792
	global_load_dwordx4 v[20:23], v[14:15], off offset:512
	;; [unrolled: 1-line block ×3, first 2 shown]
	v_add_co_u32 v4, s1, 0x2000, v8
	v_add_co_ci_u32_e64 v5, s1, 0, v9, s1
	v_add_co_u32 v6, s1, v24, v6
	v_add_co_ci_u32_e64 v7, s1, v25, v7, s1
	s_clause 0x4
	global_load_dwordx4 v[32:35], v[10:11], off
	global_load_dwordx4 v[24:27], v[57:58], off offset:768
	global_load_dwordx4 v[12:15], v[57:58], off offset:1536
	;; [unrolled: 1-line block ×3, first 2 shown]
	global_load_dwordx4 v[4:7], v[6:7], off
.LBB0_11:
	s_or_b32 exec_lo, exec_lo, s6
	s_and_saveexec_b32 s33, s0
	s_cbranch_execz .LBB0_13
; %bb.12:
	s_waitcnt vmcnt(11)
	v_add_f64 v[57:58], v[50:51], v[2:3]
	v_add_f64 v[59:60], v[48:49], v[0:1]
	s_waitcnt vmcnt(0)
	v_add_f64 v[67:68], v[48:49], -v[4:5]
	v_add_f64 v[69:70], v[48:49], v[4:5]
	s_mov_b32 s4, 0x4bc48dbf
	s_mov_b32 s0, 0x93053d00
	;; [unrolled: 1-line block ×4, first 2 shown]
	v_add_f64 v[48:49], v[44:45], -v[8:9]
	v_add_f64 v[65:66], v[50:51], v[6:7]
	v_add_f64 v[63:64], v[50:51], -v[6:7]
	s_mov_b32 s14, 0x4267c47c
	s_mov_b32 s8, 0xe00740e9
	;; [unrolled: 1-line block ×6, first 2 shown]
	v_add_f64 v[50:51], v[46:47], v[10:11]
	s_mov_b32 s20, 0x24c2f84
	s_mov_b32 s18, 0xd0032e0c
	;; [unrolled: 1-line block ×4, first 2 shown]
	v_add_f64 v[57:58], v[46:47], v[57:58]
	v_add_f64 v[59:60], v[44:45], v[59:60]
	;; [unrolled: 1-line block ×3, first 2 shown]
	v_mul_f64 v[73:74], v[67:68], s[4:5]
	v_mul_f64 v[75:76], v[69:70], s[0:1]
	s_mov_b32 s19, 0xbfe7f3cc
	s_mov_b32 s16, s14
	v_add_f64 v[87:88], v[28:29], -v[24:25]
	v_mul_f64 v[79:80], v[48:49], s[14:15]
	v_add_f64 v[89:90], v[14:15], v[42:43]
	s_mov_b32 s24, 0x42a4c3d2
	s_mov_b32 s26, 0x1ea71119
	s_mov_b32 s23, 0x3fe5384d
	s_mov_b32 s25, 0x3fea55e2
	s_mov_b32 s27, 0x3fe22d96
	s_mov_b32 s22, s20
	s_mov_b32 s30, 0x2ef20147
	s_mov_b32 s34, 0xb2365da1
	s_mov_b32 s29, 0xbfea55e2
	s_mov_b32 s31, 0xbfedeba7
	s_mov_b32 s35, 0xbfd6b1d8
	s_mov_b32 s28, s24
	v_add_f64 v[57:58], v[42:43], v[57:58]
	v_add_f64 v[59:60], v[40:41], v[59:60]
	v_mul_f64 v[81:82], v[44:45], s[8:9]
	v_fma_f64 v[83:84], v[65:66], s[0:1], v[73:74]
	v_fma_f64 v[85:86], v[63:64], s[6:7], v[75:76]
	v_add_f64 v[42:43], v[42:43], -v[14:15]
	s_mov_b32 s38, 0x66966769
	s_mov_b32 s40, 0xebaa3ed8
	v_fma_f64 v[95:96], v[50:51], s[8:9], v[79:80]
	s_mov_b32 s37, 0x3fedeba7
	s_mov_b32 s39, 0x3fefc445
	;; [unrolled: 1-line block ×6, first 2 shown]
	v_mul_f64 v[103:104], v[69:70], s[34:35]
	v_mul_f64 v[105:106], v[67:68], s[42:43]
	;; [unrolled: 1-line block ×5, first 2 shown]
	v_fma_f64 v[73:74], v[65:66], s[0:1], -v[73:74]
	v_fma_f64 v[75:76], v[63:64], s[4:5], v[75:76]
	v_add_f64 v[57:58], v[30:31], v[57:58]
	v_add_f64 v[59:60], v[28:29], v[59:60]
	v_add_f64 v[28:29], v[24:25], v[28:29]
	v_add_f64 v[83:84], v[83:84], v[2:3]
	v_add_f64 v[85:86], v[85:86], v[0:1]
	v_mul_f64 v[127:128], v[44:45], s[40:41]
	v_fma_f64 v[79:80], v[50:51], s[8:9], -v[79:80]
	v_mul_f64 v[129:130], v[48:49], s[22:23]
	v_fma_f64 v[119:120], v[63:64], s[36:37], v[103:104]
	v_fma_f64 v[103:104], v[63:64], s[30:31], v[103:104]
	;; [unrolled: 1-line block ×4, first 2 shown]
	v_fma_f64 v[105:106], v[65:66], s[40:41], -v[105:106]
	v_fma_f64 v[107:108], v[63:64], s[42:43], v[107:108]
	v_add_f64 v[73:74], v[73:74], v[2:3]
	v_add_f64 v[57:58], v[18:19], v[57:58]
	;; [unrolled: 1-line block ×14, first 2 shown]
	v_add_f64 v[59:60], v[40:41], -v[12:13]
	v_add_f64 v[57:58], v[12:13], v[40:41]
	v_add_f64 v[40:41], v[46:47], -v[10:11]
	v_add_f64 v[46:47], v[22:23], v[38:39]
	v_mul_f64 v[79:80], v[44:45], s[18:19]
	v_add_f64 v[77:78], v[38:39], v[61:62]
	v_add_f64 v[71:72], v[36:37], v[71:72]
	v_mul_f64 v[91:92], v[59:60], s[20:21]
	v_mul_f64 v[93:94], v[57:58], s[18:19]
	v_fma_f64 v[97:98], v[40:41], s[16:17], v[81:82]
	v_add_f64 v[61:62], v[20:21], -v[36:37]
	v_add_f64 v[36:37], v[20:21], v[36:37]
	v_add_f64 v[20:21], v[22:23], -v[38:39]
	v_add_f64 v[38:39], v[16:17], -v[32:33]
	v_add_f64 v[22:23], v[18:19], v[34:35]
	v_fma_f64 v[81:82], v[40:41], s[14:15], v[81:82]
	v_add_f64 v[77:78], v[34:35], v[77:78]
	v_add_f64 v[71:72], v[32:33], v[71:72]
	;; [unrolled: 1-line block ×3, first 2 shown]
	v_add_f64 v[16:17], v[18:19], -v[34:35]
	v_add_f64 v[34:35], v[26:27], v[30:31]
	v_add_f64 v[18:19], v[30:31], -v[26:27]
	v_mul_f64 v[30:31], v[87:88], s[24:25]
	v_fma_f64 v[99:100], v[42:43], s[22:23], v[93:94]
	v_add_f64 v[85:86], v[97:98], v[85:86]
	v_mul_f64 v[95:96], v[38:39], s[30:31]
	v_add_f64 v[75:76], v[81:82], v[75:76]
	v_mul_f64 v[81:82], v[59:60], s[28:29]
	v_fma_f64 v[93:94], v[42:43], s[20:21], v[93:94]
	v_add_f64 v[26:27], v[26:27], v[77:78]
	v_add_f64 v[24:25], v[24:25], v[71:72]
	v_mul_f64 v[71:72], v[28:29], s[26:27]
	v_fma_f64 v[77:78], v[89:90], s[18:19], v[91:92]
	v_mul_f64 v[97:98], v[32:33], s[34:35]
	v_fma_f64 v[91:92], v[89:90], s[18:19], -v[91:92]
	v_fma_f64 v[101:102], v[34:35], s[26:27], v[30:31]
	v_fma_f64 v[30:31], v[34:35], s[26:27], -v[30:31]
	v_add_f64 v[85:86], v[99:100], v[85:86]
	v_mul_f64 v[99:100], v[67:68], s[30:31]
	v_fma_f64 v[117:118], v[22:23], s[34:35], v[95:96]
	v_fma_f64 v[95:96], v[22:23], s[34:35], -v[95:96]
	v_add_f64 v[75:76], v[93:94], v[75:76]
	v_mul_f64 v[93:94], v[57:58], s[8:9]
	v_add_f64 v[14:15], v[14:15], v[26:27]
	v_add_f64 v[12:13], v[12:13], v[24:25]
	v_mul_f64 v[24:25], v[67:68], s[20:21]
	v_add_f64 v[77:78], v[77:78], v[83:84]
	v_fma_f64 v[83:84], v[18:19], s[28:29], v[71:72]
	v_mul_f64 v[26:27], v[69:70], s[18:19]
	v_mul_f64 v[67:68], v[67:68], s[16:17]
	;; [unrolled: 1-line block ×3, first 2 shown]
	v_add_f64 v[73:74], v[91:92], v[73:74]
	v_mul_f64 v[91:92], v[59:60], s[14:15]
	v_fma_f64 v[71:72], v[18:19], s[24:25], v[71:72]
	v_add_f64 v[10:11], v[10:11], v[14:15]
	v_add_f64 v[8:9], v[8:9], v[12:13]
	v_mul_f64 v[12:13], v[61:62], s[38:39]
	v_mul_f64 v[14:15], v[36:37], s[40:41]
	v_add_f64 v[77:78], v[101:102], v[77:78]
	v_fma_f64 v[101:102], v[16:17], s[36:37], v[97:98]
	v_add_f64 v[83:84], v[83:84], v[85:86]
	v_fma_f64 v[113:114], v[65:66], s[18:19], v[24:25]
	v_fma_f64 v[115:116], v[63:64], s[22:23], v[26:27]
	v_fma_f64 v[24:25], v[65:66], s[18:19], -v[24:25]
	v_fma_f64 v[26:27], v[63:64], s[20:21], v[26:27]
	v_fma_f64 v[85:86], v[65:66], s[34:35], v[99:100]
	v_fma_f64 v[99:100], v[65:66], s[34:35], -v[99:100]
	v_fma_f64 v[125:126], v[65:66], s[8:9], v[67:68]
	v_add_f64 v[30:31], v[30:31], v[73:74]
	v_fma_f64 v[73:74], v[89:90], s[8:9], v[91:92]
	v_add_f64 v[71:72], v[71:72], v[75:76]
	v_fma_f64 v[75:76], v[42:43], s[16:17], v[93:94]
	v_fma_f64 v[97:98], v[16:17], s[30:31], v[97:98]
	v_fma_f64 v[91:92], v[89:90], s[8:9], -v[91:92]
	v_fma_f64 v[93:94], v[42:43], s[14:15], v[93:94]
	v_add_f64 v[6:7], v[6:7], v[10:11]
	v_add_f64 v[4:5], v[4:5], v[8:9]
	v_fma_f64 v[8:9], v[65:66], s[26:27], v[109:110]
	v_fma_f64 v[10:11], v[63:64], s[24:25], v[111:112]
	v_fma_f64 v[109:110], v[65:66], s[26:27], -v[109:110]
	v_fma_f64 v[111:112], v[63:64], s[28:29], v[111:112]
	v_fma_f64 v[65:66], v[65:66], s[8:9], -v[67:68]
	v_fma_f64 v[67:68], v[63:64], s[14:15], v[69:70]
	v_fma_f64 v[63:64], v[63:64], s[16:17], v[69:70]
	v_mul_f64 v[69:70], v[48:49], s[38:39]
	v_add_f64 v[77:78], v[117:118], v[77:78]
	v_fma_f64 v[117:118], v[46:47], s[40:41], v[12:13]
	v_add_f64 v[83:84], v[101:102], v[83:84]
	v_fma_f64 v[101:102], v[20:21], s[42:43], v[14:15]
	v_add_f64 v[113:114], v[113:114], v[2:3]
	v_add_f64 v[115:116], v[115:116], v[0:1]
	;; [unrolled: 1-line block ×9, first 2 shown]
	v_mul_f64 v[97:98], v[38:39], s[6:7]
	v_add_f64 v[8:9], v[8:9], v[2:3]
	v_add_f64 v[10:11], v[10:11], v[0:1]
	;; [unrolled: 1-line block ×7, first 2 shown]
	v_fma_f64 v[12:13], v[46:47], s[40:41], -v[12:13]
	v_fma_f64 v[14:15], v[20:21], s[38:39], v[14:15]
	v_add_f64 v[2:3], v[117:118], v[77:78]
	v_fma_f64 v[77:78], v[50:51], s[40:41], v[69:70]
	v_add_f64 v[0:1], v[101:102], v[83:84]
	v_fma_f64 v[83:84], v[40:41], s[42:43], v[127:128]
	v_fma_f64 v[69:70], v[50:51], s[40:41], -v[69:70]
	v_fma_f64 v[101:102], v[40:41], s[38:39], v[127:128]
	v_fma_f64 v[117:118], v[50:51], s[18:19], -v[129:130]
	v_add_f64 v[77:78], v[77:78], v[113:114]
	v_fma_f64 v[113:114], v[50:51], s[18:19], v[129:130]
	v_add_f64 v[83:84], v[83:84], v[115:116]
	v_fma_f64 v[115:116], v[40:41], s[20:21], v[79:80]
	v_add_f64 v[24:25], v[69:70], v[24:25]
	v_mul_f64 v[69:70], v[57:58], s[26:27]
	v_add_f64 v[26:27], v[101:102], v[26:27]
	v_mul_f64 v[101:102], v[87:88], s[6:7]
	;; [unrolled: 2-line block ×3, first 2 shown]
	v_fma_f64 v[79:80], v[40:41], s[22:23], v[79:80]
	v_add_f64 v[85:86], v[113:114], v[85:86]
	v_fma_f64 v[113:114], v[89:90], s[26:27], v[81:82]
	v_add_f64 v[115:116], v[115:116], v[119:120]
	v_fma_f64 v[81:82], v[89:90], s[26:27], -v[81:82]
	v_fma_f64 v[119:120], v[42:43], s[24:25], v[69:70]
	v_fma_f64 v[69:70], v[42:43], s[28:29], v[69:70]
	v_add_f64 v[91:92], v[91:92], v[99:100]
	v_add_f64 v[79:80], v[79:80], v[103:104]
	v_mul_f64 v[103:104], v[57:58], s[34:35]
	v_add_f64 v[73:74], v[73:74], v[85:86]
	v_add_f64 v[77:78], v[113:114], v[77:78]
	v_fma_f64 v[113:114], v[34:35], s[0:1], v[101:102]
	v_add_f64 v[24:25], v[81:82], v[24:25]
	v_add_f64 v[83:84], v[119:120], v[83:84]
	v_mul_f64 v[119:120], v[38:39], s[14:15]
	v_fma_f64 v[81:82], v[18:19], s[4:5], v[117:118]
	v_fma_f64 v[101:102], v[34:35], s[0:1], -v[101:102]
	v_add_f64 v[26:27], v[69:70], v[26:27]
	v_mul_f64 v[69:70], v[32:33], s[8:9]
	v_fma_f64 v[117:118], v[18:19], s[6:7], v[117:118]
	v_mul_f64 v[85:86], v[28:29], s[40:41]
	v_add_f64 v[75:76], v[75:76], v[115:116]
	v_mul_f64 v[115:116], v[48:49], s[4:5]
	v_add_f64 v[79:80], v[93:94], v[79:80]
	v_mul_f64 v[93:94], v[48:49], s[30:31]
	v_mul_f64 v[48:49], v[48:49], s[28:29]
	v_add_f64 v[77:78], v[113:114], v[77:78]
	v_mul_f64 v[113:114], v[87:88], s[42:43]
	v_add_f64 v[81:82], v[81:82], v[83:84]
	v_fma_f64 v[83:84], v[22:23], s[8:9], v[119:120]
	v_add_f64 v[24:25], v[101:102], v[24:25]
	v_fma_f64 v[101:102], v[16:17], s[16:17], v[69:70]
	v_fma_f64 v[119:120], v[22:23], s[8:9], -v[119:120]
	v_fma_f64 v[69:70], v[16:17], s[14:15], v[69:70]
	v_add_f64 v[26:27], v[117:118], v[26:27]
	v_mul_f64 v[117:118], v[44:45], s[0:1]
	v_fma_f64 v[95:96], v[18:19], s[38:39], v[85:86]
	v_fma_f64 v[85:86], v[18:19], s[42:43], v[85:86]
	v_fma_f64 v[99:100], v[34:35], s[40:41], -v[113:114]
	v_add_f64 v[77:78], v[83:84], v[77:78]
	v_fma_f64 v[83:84], v[34:35], s[40:41], v[113:114]
	v_add_f64 v[81:82], v[101:102], v[81:82]
	v_add_f64 v[24:25], v[119:120], v[24:25]
	v_mul_f64 v[101:102], v[32:33], s[0:1]
	v_fma_f64 v[113:114], v[50:51], s[0:1], v[115:116]
	v_mul_f64 v[119:120], v[59:60], s[36:37]
	v_fma_f64 v[115:116], v[50:51], s[0:1], -v[115:116]
	v_add_f64 v[26:27], v[69:70], v[26:27]
	v_fma_f64 v[69:70], v[40:41], s[6:7], v[117:118]
	v_fma_f64 v[117:118], v[40:41], s[4:5], v[117:118]
	v_add_f64 v[75:76], v[95:96], v[75:76]
	v_add_f64 v[79:80], v[85:86], v[79:80]
	;; [unrolled: 1-line block ×4, first 2 shown]
	v_fma_f64 v[83:84], v[22:23], s[0:1], v[97:98]
	v_fma_f64 v[97:98], v[22:23], s[0:1], -v[97:98]
	v_fma_f64 v[95:96], v[16:17], s[4:5], v[101:102]
	v_add_f64 v[99:100], v[113:114], v[121:122]
	v_fma_f64 v[113:114], v[89:90], s[34:35], v[119:120]
	v_mul_f64 v[121:122], v[87:88], s[14:15]
	v_add_f64 v[105:106], v[115:116], v[105:106]
	v_fma_f64 v[119:120], v[89:90], s[34:35], -v[119:120]
	v_add_f64 v[69:70], v[69:70], v[123:124]
	v_fma_f64 v[123:124], v[42:43], s[30:31], v[103:104]
	v_mul_f64 v[115:116], v[28:29], s[8:9]
	v_add_f64 v[107:108], v[117:118], v[107:108]
	v_mul_f64 v[117:118], v[44:45], s[34:35]
	v_fma_f64 v[103:104], v[42:43], s[36:37], v[103:104]
	v_mul_f64 v[44:45], v[44:45], s[26:27]
	v_fma_f64 v[101:102], v[16:17], s[6:7], v[101:102]
	v_add_f64 v[73:74], v[83:84], v[73:74]
	v_add_f64 v[91:92], v[97:98], v[91:92]
	;; [unrolled: 1-line block ×3, first 2 shown]
	v_fma_f64 v[95:96], v[50:51], s[34:35], v[93:94]
	v_add_f64 v[83:84], v[113:114], v[99:100]
	v_fma_f64 v[99:100], v[34:35], s[8:9], v[121:122]
	v_mul_f64 v[113:114], v[59:60], s[4:5]
	v_add_f64 v[105:106], v[119:120], v[105:106]
	v_fma_f64 v[119:120], v[34:35], s[8:9], -v[121:122]
	v_fma_f64 v[93:94], v[50:51], s[34:35], -v[93:94]
	v_add_f64 v[69:70], v[123:124], v[69:70]
	v_fma_f64 v[123:124], v[18:19], s[16:17], v[115:116]
	v_fma_f64 v[121:122], v[40:41], s[36:37], v[117:118]
	v_mul_f64 v[97:98], v[57:58], s[0:1]
	v_add_f64 v[85:86], v[103:104], v[107:108]
	v_fma_f64 v[103:104], v[18:19], s[14:15], v[115:116]
	v_mul_f64 v[115:116], v[87:88], s[22:23]
	v_fma_f64 v[117:118], v[40:41], s[30:31], v[117:118]
	v_mul_f64 v[59:60], v[59:60], s[42:43]
	v_mul_f64 v[57:58], v[57:58], s[40:41]
	;; [unrolled: 1-line block ×4, first 2 shown]
	v_add_f64 v[79:80], v[101:102], v[79:80]
	v_add_f64 v[8:9], v[95:96], v[8:9]
	;; [unrolled: 1-line block ×3, first 2 shown]
	v_mul_f64 v[99:100], v[32:33], s[26:27]
	v_fma_f64 v[95:96], v[89:90], s[0:1], v[113:114]
	v_add_f64 v[105:106], v[119:120], v[105:106]
	v_fma_f64 v[119:120], v[50:51], s[26:27], -v[48:49]
	v_add_f64 v[93:94], v[93:94], v[109:110]
	v_fma_f64 v[109:110], v[40:41], s[28:29], v[44:45]
	v_add_f64 v[69:70], v[123:124], v[69:70]
	v_add_f64 v[10:11], v[121:122], v[10:11]
	v_fma_f64 v[121:122], v[42:43], s[6:7], v[97:98]
	v_mul_f64 v[123:124], v[28:29], s[18:19]
	v_fma_f64 v[113:114], v[89:90], s[0:1], -v[113:114]
	v_fma_f64 v[48:49], v[50:51], s[26:27], v[48:49]
	v_fma_f64 v[40:41], v[40:41], s[24:25], v[44:45]
	v_add_f64 v[85:86], v[103:104], v[85:86]
	v_add_f64 v[111:112], v[117:118], v[111:112]
	v_mul_f64 v[117:118], v[38:39], s[38:39]
	v_fma_f64 v[97:98], v[42:43], s[4:5], v[97:98]
	v_mul_f64 v[28:29], v[28:29], s[34:35]
	v_fma_f64 v[103:104], v[22:23], s[26:27], v[107:108]
	v_mul_f64 v[38:39], v[38:39], s[20:21]
	v_fma_f64 v[107:108], v[22:23], s[26:27], -v[107:108]
	v_fma_f64 v[50:51], v[16:17], s[24:25], v[99:100]
	v_add_f64 v[8:9], v[95:96], v[8:9]
	v_fma_f64 v[95:96], v[34:35], s[18:19], v[115:116]
	v_fma_f64 v[99:100], v[16:17], s[28:29], v[99:100]
	v_add_f64 v[44:45], v[119:120], v[65:66]
	v_fma_f64 v[65:66], v[89:90], s[40:41], -v[59:60]
	v_add_f64 v[63:64], v[109:110], v[63:64]
	v_fma_f64 v[109:110], v[42:43], s[42:43], v[57:58]
	v_add_f64 v[10:11], v[121:122], v[10:11]
	v_fma_f64 v[119:120], v[18:19], s[20:21], v[123:124]
	v_add_f64 v[93:94], v[113:114], v[93:94]
	v_fma_f64 v[113:114], v[34:35], s[18:19], -v[115:116]
	v_mul_f64 v[115:116], v[32:33], s[40:41]
	v_fma_f64 v[59:60], v[89:90], s[40:41], v[59:60]
	v_add_f64 v[48:49], v[48:49], v[125:126]
	v_fma_f64 v[42:43], v[42:43], s[38:39], v[57:58]
	v_add_f64 v[40:41], v[40:41], v[67:68]
	v_fma_f64 v[89:90], v[22:23], s[40:41], v[117:118]
	v_fma_f64 v[57:58], v[18:19], s[22:23], v[123:124]
	v_mul_f64 v[32:33], v[32:33], s[18:19]
	v_add_f64 v[83:84], v[103:104], v[83:84]
	v_mul_f64 v[103:104], v[36:37], s[0:1]
	v_add_f64 v[50:51], v[50:51], v[69:70]
	v_add_f64 v[69:70], v[107:108], v[105:106]
	;; [unrolled: 1-line block ×6, first 2 shown]
	v_fma_f64 v[65:66], v[34:35], s[34:35], -v[87:88]
	v_add_f64 v[63:64], v[109:110], v[63:64]
	v_fma_f64 v[85:86], v[18:19], s[30:31], v[28:29]
	v_add_f64 v[10:11], v[119:120], v[10:11]
	v_fma_f64 v[34:35], v[34:35], s[34:35], v[87:88]
	v_fma_f64 v[18:19], v[18:19], s[36:37], v[28:29]
	;; [unrolled: 1-line block ×3, first 2 shown]
	v_mul_f64 v[99:100], v[61:62], s[30:31]
	v_add_f64 v[48:49], v[59:60], v[48:49]
	v_add_f64 v[93:94], v[113:114], v[93:94]
	;; [unrolled: 1-line block ×3, first 2 shown]
	v_fma_f64 v[101:102], v[22:23], s[40:41], -v[117:118]
	v_mul_f64 v[59:60], v[36:37], s[34:35]
	v_fma_f64 v[42:43], v[16:17], s[38:39], v[115:116]
	v_mul_f64 v[105:106], v[36:37], s[8:9]
	v_add_f64 v[87:88], v[89:90], v[8:9]
	v_mul_f64 v[8:9], v[61:62], s[24:25]
	v_add_f64 v[40:41], v[57:58], v[95:96]
	v_fma_f64 v[57:58], v[22:23], s[18:19], -v[38:39]
	v_add_f64 v[44:45], v[65:66], v[44:45]
	v_mul_f64 v[89:90], v[61:62], s[20:21]
	v_mul_f64 v[95:96], v[61:62], s[14:15]
	v_add_f64 v[63:64], v[85:86], v[63:64]
	v_fma_f64 v[85:86], v[16:17], s[20:21], v[32:33]
	v_mul_f64 v[61:62], v[61:62], s[4:5]
	v_mul_f64 v[65:66], v[36:37], s[26:27]
	;; [unrolled: 1-line block ×3, first 2 shown]
	v_add_f64 v[97:98], v[97:98], v[10:11]
	v_fma_f64 v[10:11], v[22:23], s[18:19], v[38:39]
	v_add_f64 v[34:35], v[34:35], v[48:49]
	v_fma_f64 v[16:17], v[16:17], s[22:23], v[32:33]
	;; [unrolled: 2-line block ×3, first 2 shown]
	v_fma_f64 v[38:39], v[46:47], s[34:35], -v[99:100]
	v_fma_f64 v[99:100], v[20:21], s[4:5], v[103:104]
	v_add_f64 v[93:94], v[101:102], v[93:94]
	v_fma_f64 v[22:23], v[20:21], s[36:37], v[59:60]
	v_fma_f64 v[28:29], v[20:21], s[30:31], v[59:60]
	;; [unrolled: 1-line block ×3, first 2 shown]
	v_add_f64 v[40:41], v[42:43], v[40:41]
	v_fma_f64 v[48:49], v[46:47], s[26:27], -v[8:9]
	v_add_f64 v[32:33], v[57:58], v[44:45]
	v_fma_f64 v[57:58], v[46:47], s[18:19], -v[89:90]
	v_fma_f64 v[59:60], v[46:47], s[8:9], -v[95:96]
	v_fma_f64 v[42:43], v[46:47], s[26:27], v[8:9]
	v_add_f64 v[63:64], v[85:86], v[63:64]
	v_fma_f64 v[85:86], v[46:47], s[0:1], -v[61:62]
	v_fma_f64 v[44:45], v[20:21], s[28:29], v[65:66]
	v_fma_f64 v[109:110], v[20:21], s[20:21], v[36:37]
	v_fma_f64 v[65:66], v[20:21], s[24:25], v[65:66]
	v_fma_f64 v[89:90], v[46:47], s[18:19], v[89:90]
	v_fma_f64 v[95:96], v[46:47], s[8:9], v[95:96]
	v_fma_f64 v[61:62], v[46:47], s[0:1], v[61:62]
	v_fma_f64 v[46:47], v[20:21], s[22:23], v[36:37]
	v_fma_f64 v[105:106], v[20:21], s[16:17], v[105:106]
	v_add_f64 v[111:112], v[10:11], v[34:35]
	v_fma_f64 v[103:104], v[20:21], s[6:7], v[103:104]
	v_add_f64 v[113:114], v[16:17], v[18:19]
	v_add_f64 v[10:11], v[12:13], v[30:31]
	;; [unrolled: 1-line block ×23, first 2 shown]
	v_mad_u32_u24 v57, 0xd0, v56, 0
	ds_write_b128 v57, v[4:7]
	ds_write_b128 v57, v[32:35] offset:16
	ds_write_b128 v57, v[28:31] offset:32
	ds_write_b128 v57, v[24:27] offset:48
	ds_write_b128 v57, v[20:23] offset:64
	ds_write_b128 v57, v[16:19] offset:80
	ds_write_b128 v57, v[8:11] offset:96
	ds_write_b128 v57, v[0:3] offset:112
	ds_write_b128 v57, v[12:15] offset:128
	ds_write_b128 v57, v[36:39] offset:144
	ds_write_b128 v57, v[40:43] offset:160
	ds_write_b128 v57, v[44:47] offset:176
	ds_write_b128 v57, v[48:51] offset:192
.LBB0_13:
	s_or_b32 exec_lo, exec_lo, s33
	s_waitcnt vmcnt(12)
	v_and_b32_e32 v0, 0xff, v56
	v_add_nc_u16 v1, v56, 52
	v_add_nc_u16 v2, v56, 0x68
	s_load_dwordx2 s[0:1], s[2:3], 0x0
	s_waitcnt vmcnt(0) lgkmcnt(0)
	v_mul_lo_u16 v0, 0x4f, v0
	v_and_b32_e32 v3, 0xff, v1
	v_and_b32_e32 v4, 0xff, v2
	s_barrier
	buffer_gl0_inv
	v_lshrrev_b16 v51, 10, v0
	v_mul_lo_u16 v0, 0x4f, v3
	v_mul_lo_u16 v3, 0x4f, v4
	s_mov_b32 s2, 0xe8584caa
	s_mov_b32 s3, 0xbfebb67a
	v_mul_lo_u16 v4, v51, 13
	v_lshrrev_b16 v109, 10, v0
	v_lshrrev_b16 v110, 10, v3
	v_mov_b32_e32 v0, 3
	s_mov_b32 s5, 0x3febb67a
	v_sub_nc_u16 v111, v56, v4
	v_mul_lo_u16 v3, v109, 13
	v_mul_lo_u16 v4, v110, 13
	s_mov_b32 s4, s2
	v_mul_u32_u24_sdwa v5, v111, v0 dst_sel:DWORD dst_unused:UNUSED_PAD src0_sel:BYTE_0 src1_sel:DWORD
	v_sub_nc_u16 v112, v1, v3
	v_sub_nc_u16 v113, v2, v4
	v_lshlrev_b32_e32 v9, 4, v5
	v_mul_u32_u24_sdwa v5, v112, v0 dst_sel:DWORD dst_unused:UNUSED_PAD src0_sel:BYTE_0 src1_sel:DWORD
	v_mul_u32_u24_sdwa v0, v113, v0 dst_sel:DWORD dst_unused:UNUSED_PAD src0_sel:BYTE_0 src1_sel:DWORD
	global_load_dwordx4 v[1:4], v9, s[12:13]
	v_lshlrev_b32_e32 v21, 4, v5
	v_lshlrev_b32_e32 v0, 4, v0
	s_clause 0x7
	global_load_dwordx4 v[5:8], v9, s[12:13] offset:16
	global_load_dwordx4 v[9:12], v9, s[12:13] offset:32
	global_load_dwordx4 v[13:16], v21, s[12:13]
	global_load_dwordx4 v[17:20], v21, s[12:13] offset:16
	global_load_dwordx4 v[21:24], v21, s[12:13] offset:32
	global_load_dwordx4 v[25:28], v0, s[12:13]
	global_load_dwordx4 v[29:32], v0, s[12:13] offset:16
	global_load_dwordx4 v[33:36], v0, s[12:13] offset:32
	v_lshl_add_u32 v0, v56, 4, 0
	ds_read_b128 v[37:40], v0 offset:2496
	ds_read_b128 v[41:44], v0 offset:4992
	;; [unrolled: 1-line block ×10, first 2 shown]
	ds_read_b128 v[85:88], v0
	ds_read_b128 v[89:92], v0 offset:832
	s_waitcnt vmcnt(0) lgkmcnt(0)
	s_barrier
	buffer_gl0_inv
	v_mul_f64 v[49:50], v[39:40], v[3:4]
	v_mul_f64 v[3:4], v[37:38], v[3:4]
	;; [unrolled: 1-line block ×18, first 2 shown]
	v_fma_f64 v[37:38], v[37:38], v[1:2], v[49:50]
	v_fma_f64 v[1:2], v[39:40], v[1:2], -v[3:4]
	v_fma_f64 v[3:4], v[41:42], v[5:6], v[93:94]
	v_fma_f64 v[5:6], v[43:44], v[5:6], -v[7:8]
	;; [unrolled: 2-line block ×9, first 2 shown]
	v_mov_b32_e32 v65, 0x340
	v_mov_b32_e32 v66, 4
	v_mul_u32_u24_e32 v67, 5, v56
	v_mul_u32_u24_sdwa v51, v51, v65 dst_sel:DWORD dst_unused:UNUSED_PAD src0_sel:WORD_0 src1_sel:DWORD
	v_add_f64 v[35:36], v[85:86], -v[3:4]
	v_add_f64 v[39:40], v[87:88], -v[5:6]
	;; [unrolled: 1-line block ×4, first 2 shown]
	v_mul_u32_u24_sdwa v68, v109, v65 dst_sel:DWORD dst_unused:UNUSED_PAD src0_sel:WORD_0 src1_sel:DWORD
	v_add_f64 v[41:42], v[89:90], -v[15:16]
	v_add_f64 v[43:44], v[91:92], -v[17:18]
	;; [unrolled: 1-line block ×8, first 2 shown]
	v_fma_f64 v[33:34], v[85:86], 2.0, -v[35:36]
	v_fma_f64 v[47:48], v[87:88], 2.0, -v[39:40]
	v_fma_f64 v[19:20], v[37:38], 2.0, -v[3:4]
	v_fma_f64 v[21:22], v[1:2], 2.0, -v[5:6]
	v_add_f64 v[1:2], v[35:36], v[5:6]
	v_add_f64 v[3:4], v[39:40], -v[3:4]
	v_fma_f64 v[57:58], v[89:90], 2.0, -v[41:42]
	v_fma_f64 v[59:60], v[91:92], 2.0, -v[43:44]
	v_fma_f64 v[27:28], v[11:12], 2.0, -v[7:8]
	v_fma_f64 v[29:30], v[13:14], 2.0, -v[9:10]
	v_add_f64 v[5:6], v[41:42], v[9:10]
	v_add_f64 v[7:8], v[43:44], -v[7:8]
	;; [unrolled: 6-line block ×3, first 2 shown]
	v_add_f64 v[9:10], v[33:34], -v[19:20]
	v_add_f64 v[11:12], v[47:48], -v[21:22]
	;; [unrolled: 1-line block ×4, first 2 shown]
	v_fma_f64 v[27:28], v[39:40], 2.0, -v[3:4]
	v_fma_f64 v[29:30], v[41:42], 2.0, -v[5:6]
	;; [unrolled: 1-line block ×3, first 2 shown]
	v_add_f64 v[21:22], v[61:62], -v[23:24]
	v_add_f64 v[23:24], v[63:64], -v[25:26]
	v_fma_f64 v[25:26], v[35:36], 2.0, -v[1:2]
	v_fma_f64 v[37:38], v[45:46], 2.0, -v[13:14]
	;; [unrolled: 1-line block ×3, first 2 shown]
	v_lshlrev_b32_sdwa v50, v66, v111 dst_sel:DWORD dst_unused:UNUSED_PAD src0_sel:DWORD src1_sel:BYTE_0
	v_mul_u32_u24_sdwa v49, v110, v65 dst_sel:DWORD dst_unused:UNUSED_PAD src0_sel:WORD_0 src1_sel:DWORD
	v_add3_u32 v50, 0, v51, v50
	v_fma_f64 v[33:34], v[33:34], 2.0, -v[9:10]
	v_fma_f64 v[35:36], v[47:48], 2.0, -v[11:12]
	;; [unrolled: 1-line block ×4, first 2 shown]
	v_lshlrev_b32_sdwa v57, v66, v112 dst_sel:DWORD dst_unused:UNUSED_PAD src0_sel:DWORD src1_sel:BYTE_0
	v_lshlrev_b32_sdwa v58, v66, v113 dst_sel:DWORD dst_unused:UNUSED_PAD src0_sel:DWORD src1_sel:BYTE_0
	v_lshlrev_b32_e32 v59, 4, v67
	v_fma_f64 v[45:46], v[61:62], 2.0, -v[21:22]
	v_fma_f64 v[47:48], v[63:64], 2.0, -v[23:24]
	v_add3_u32 v51, 0, v68, v57
	v_add3_u32 v49, 0, v49, v58
	ds_write_b128 v50, v[1:4] offset:624
	ds_write_b128 v50, v[25:28] offset:208
	;; [unrolled: 1-line block ×3, first 2 shown]
	ds_write_b128 v50, v[33:36]
	ds_write_b128 v51, v[29:32] offset:208
	ds_write_b128 v51, v[17:20] offset:416
	;; [unrolled: 1-line block ×3, first 2 shown]
	ds_write_b128 v51, v[41:44]
	ds_write_b128 v49, v[45:48]
	ds_write_b128 v49, v[37:40] offset:208
	ds_write_b128 v49, v[21:24] offset:416
	;; [unrolled: 1-line block ×3, first 2 shown]
	s_waitcnt lgkmcnt(0)
	s_barrier
	buffer_gl0_inv
	s_clause 0x4
	global_load_dwordx4 v[1:4], v59, s[12:13] offset:656
	global_load_dwordx4 v[5:8], v59, s[12:13] offset:688
	;; [unrolled: 1-line block ×5, first 2 shown]
	ds_read_b128 v[21:24], v0 offset:4992
	ds_read_b128 v[25:28], v0 offset:8320
	;; [unrolled: 1-line block ×8, first 2 shown]
	s_waitcnt vmcnt(4) lgkmcnt(7)
	v_mul_f64 v[49:50], v[21:22], v[3:4]
	s_waitcnt vmcnt(3) lgkmcnt(6)
	v_mul_f64 v[61:62], v[25:26], v[7:8]
	s_waitcnt lgkmcnt(5)
	v_mul_f64 v[69:70], v[29:30], v[3:4]
	s_waitcnt lgkmcnt(4)
	v_mul_f64 v[71:72], v[33:34], v[7:8]
	s_waitcnt vmcnt(2) lgkmcnt(3)
	v_mul_f64 v[73:74], v[37:38], v[11:12]
	v_mul_f64 v[75:76], v[23:24], v[3:4]
	;; [unrolled: 1-line block ×5, first 2 shown]
	s_waitcnt vmcnt(0) lgkmcnt(0)
	v_mul_f64 v[79:80], v[59:60], v[19:20]
	v_mul_f64 v[81:82], v[57:58], v[19:20]
	;; [unrolled: 1-line block ×3, first 2 shown]
	v_fma_f64 v[23:24], v[23:24], v[1:2], -v[49:50]
	v_fma_f64 v[27:28], v[27:28], v[5:6], -v[61:62]
	v_mul_f64 v[49:50], v[41:42], v[11:12]
	v_fma_f64 v[31:32], v[31:32], v[1:2], -v[69:70]
	v_fma_f64 v[35:36], v[35:36], v[5:6], -v[71:72]
	ds_read_b128 v[61:64], v0 offset:4160
	ds_read_b128 v[65:68], v0 offset:7488
	v_mul_f64 v[69:70], v[47:48], v[15:16]
	v_mul_f64 v[71:72], v[45:46], v[15:16]
	v_fma_f64 v[21:22], v[21:22], v[1:2], v[75:76]
	v_fma_f64 v[25:26], v[25:26], v[5:6], v[77:78]
	v_fma_f64 v[39:40], v[39:40], v[9:10], -v[73:74]
	v_mul_f64 v[11:12], v[43:44], v[11:12]
	v_fma_f64 v[29:30], v[29:30], v[1:2], v[3:4]
	v_fma_f64 v[33:34], v[33:34], v[5:6], v[7:8]
	;; [unrolled: 1-line block ×3, first 2 shown]
	ds_read_b128 v[1:4], v0
	v_add_f64 v[73:74], v[23:24], v[27:28]
	s_waitcnt lgkmcnt(2)
	v_mul_f64 v[75:76], v[63:64], v[15:16]
	v_mul_f64 v[15:16], v[61:62], v[15:16]
	s_waitcnt lgkmcnt(1)
	v_mul_f64 v[77:78], v[67:68], v[19:20]
	v_mul_f64 v[19:20], v[65:66], v[19:20]
	v_fma_f64 v[43:44], v[43:44], v[9:10], -v[49:50]
	v_add_f64 v[5:6], v[31:32], v[35:36]
	v_fma_f64 v[45:46], v[45:46], v[13:14], v[69:70]
	v_fma_f64 v[47:48], v[47:48], v[13:14], -v[71:72]
	v_fma_f64 v[49:50], v[57:58], v[17:18], v[79:80]
	v_fma_f64 v[57:58], v[59:60], v[17:18], -v[81:82]
	v_add_f64 v[59:60], v[21:22], v[25:26]
	v_add_f64 v[69:70], v[21:22], -v[25:26]
	v_fma_f64 v[9:10], v[41:42], v[9:10], v[11:12]
	v_add_f64 v[11:12], v[29:30], v[33:34]
	v_add_f64 v[21:22], v[37:38], v[21:22]
	v_add_f64 v[79:80], v[31:32], -v[35:36]
	v_fma_f64 v[71:72], v[73:74], -0.5, v[39:40]
	v_fma_f64 v[61:62], v[61:62], v[13:14], v[75:76]
	v_fma_f64 v[13:14], v[63:64], v[13:14], -v[15:16]
	v_fma_f64 v[15:16], v[65:66], v[17:18], v[77:78]
	v_fma_f64 v[17:18], v[67:68], v[17:18], -v[19:20]
	v_add_f64 v[19:20], v[29:30], -v[33:34]
	v_fma_f64 v[41:42], v[5:6], -0.5, v[43:44]
	ds_read_b128 v[5:8], v0 offset:832
	s_waitcnt lgkmcnt(1)
	v_add_f64 v[63:64], v[1:2], v[45:46]
	v_add_f64 v[65:66], v[45:46], v[49:50]
	v_add_f64 v[67:68], v[47:48], -v[57:58]
	v_add_f64 v[73:74], v[3:4], v[47:48]
	v_add_f64 v[47:48], v[47:48], v[57:58]
	v_add_f64 v[75:76], v[23:24], -v[27:28]
	v_fma_f64 v[59:60], v[59:60], -0.5, v[37:38]
	v_fma_f64 v[11:12], v[11:12], -0.5, v[9:10]
	v_add_f64 v[23:24], v[39:40], v[23:24]
	v_add_f64 v[9:10], v[9:10], v[29:30]
	;; [unrolled: 1-line block ×3, first 2 shown]
	v_add_f64 v[45:46], v[45:46], -v[49:50]
	v_add_f64 v[21:22], v[21:22], v[25:26]
	s_waitcnt lgkmcnt(0)
	v_fma_f64 v[77:78], v[69:70], s[4:5], v[71:72]
	v_fma_f64 v[69:70], v[69:70], s[2:3], v[71:72]
	s_barrier
	v_add_f64 v[37:38], v[61:62], v[15:16]
	v_add_f64 v[71:72], v[13:14], v[17:18]
	v_add_f64 v[81:82], v[13:14], -v[17:18]
	v_fma_f64 v[39:40], v[19:20], s[4:5], v[41:42]
	v_fma_f64 v[19:20], v[19:20], s[2:3], v[41:42]
	v_add_f64 v[41:42], v[5:6], v[61:62]
	v_add_f64 v[13:14], v[7:8], v[13:14]
	;; [unrolled: 1-line block ×3, first 2 shown]
	v_fma_f64 v[1:2], v[65:66], -0.5, v[1:2]
	v_add_f64 v[43:44], v[73:74], v[57:58]
	v_fma_f64 v[3:4], v[47:48], -0.5, v[3:4]
	v_fma_f64 v[47:48], v[75:76], s[2:3], v[59:60]
	v_fma_f64 v[49:50], v[75:76], s[4:5], v[59:60]
	v_add_f64 v[61:62], v[61:62], -v[15:16]
	v_add_f64 v[23:24], v[23:24], v[27:28]
	v_add_f64 v[25:26], v[29:30], v[35:36]
	buffer_gl0_inv
	v_mul_f64 v[57:58], v[77:78], s[2:3]
	v_mul_f64 v[63:64], v[77:78], 0.5
	v_mul_f64 v[59:60], v[69:70], s[2:3]
	v_mul_f64 v[65:66], v[69:70], -0.5
	v_fma_f64 v[5:6], v[37:38], -0.5, v[5:6]
	v_fma_f64 v[7:8], v[71:72], -0.5, v[7:8]
	v_fma_f64 v[37:38], v[79:80], s[2:3], v[11:12]
	v_mul_f64 v[69:70], v[39:40], s[2:3]
	v_mul_f64 v[39:40], v[39:40], 0.5
	v_fma_f64 v[11:12], v[79:80], s[4:5], v[11:12]
	v_mul_f64 v[71:72], v[19:20], s[2:3]
	v_mul_f64 v[19:20], v[19:20], -0.5
	v_add_f64 v[15:16], v[41:42], v[15:16]
	v_add_f64 v[17:18], v[13:14], v[17:18]
	;; [unrolled: 1-line block ×3, first 2 shown]
	v_fma_f64 v[27:28], v[67:68], s[2:3], v[1:2]
	v_fma_f64 v[33:34], v[45:46], s[4:5], v[3:4]
	;; [unrolled: 1-line block ×4, first 2 shown]
	v_add_f64 v[1:2], v[31:32], v[21:22]
	v_add_f64 v[3:4], v[43:44], v[23:24]
	v_fma_f64 v[41:42], v[47:48], 0.5, v[57:58]
	v_fma_f64 v[47:48], v[47:48], s[4:5], v[63:64]
	v_fma_f64 v[45:46], v[49:50], -0.5, v[59:60]
	v_fma_f64 v[49:50], v[49:50], s[4:5], v[65:66]
	v_fma_f64 v[57:58], v[81:82], s[2:3], v[5:6]
	;; [unrolled: 1-line block ×4, first 2 shown]
	v_fma_f64 v[65:66], v[37:38], 0.5, v[69:70]
	v_fma_f64 v[69:70], v[37:38], s[4:5], v[39:40]
	v_fma_f64 v[61:62], v[61:62], s[2:3], v[7:8]
	v_fma_f64 v[67:68], v[11:12], -0.5, v[71:72]
	v_fma_f64 v[71:72], v[11:12], s[4:5], v[19:20]
	v_add_f64 v[5:6], v[31:32], -v[21:22]
	v_add_f64 v[7:8], v[43:44], -v[23:24]
	v_add_f64 v[9:10], v[15:16], v[13:14]
	v_add_f64 v[11:12], v[17:18], v[25:26]
	v_add_f64 v[13:14], v[15:16], -v[13:14]
	v_add_f64 v[15:16], v[17:18], -v[25:26]
	v_add_f64 v[17:18], v[27:28], v[41:42]
	v_add_f64 v[19:20], v[33:34], v[47:48]
	;; [unrolled: 1-line block ×4, first 2 shown]
	v_add_f64 v[25:26], v[27:28], -v[41:42]
	v_add_f64 v[27:28], v[33:34], -v[47:48]
	;; [unrolled: 1-line block ×4, first 2 shown]
	v_add_f64 v[33:34], v[57:58], v[65:66]
	v_add_f64 v[35:36], v[63:64], v[69:70]
	;; [unrolled: 1-line block ×4, first 2 shown]
	v_add_f64 v[41:42], v[57:58], -v[65:66]
	v_add_f64 v[43:44], v[63:64], -v[69:70]
	;; [unrolled: 1-line block ×4, first 2 shown]
	ds_write_b128 v0, v[1:4]
	ds_write_b128 v0, v[5:8] offset:2496
	ds_write_b128 v0, v[9:12] offset:4992
	;; [unrolled: 1-line block ×11, first 2 shown]
	s_waitcnt lgkmcnt(0)
	s_barrier
	buffer_gl0_inv
	s_and_saveexec_b32 s2, vcc_lo
	s_cbranch_execz .LBB0_15
; %bb.14:
	v_mov_b32_e32 v50, 0
	v_add_nc_u32_e32 v49, 0x104, v56
	v_add_nc_u32_e32 v78, 0xd0, v56
	v_add_nc_u32_e32 v3, 0x9c, v56
	v_mul_lo_u32 v51, s1, v54
	v_mov_b32_e32 v79, v50
	v_lshlrev_b64 v[1:2], 4, v[49:50]
	v_mov_b32_e32 v4, v50
	v_mov_b32_e32 v57, v50
	v_mul_lo_u32 v70, s0, v55
	v_lshlrev_b64 v[5:6], 4, v[78:79]
	v_mad_u64_u32 v[81:82], null, s0, v54, 0
	v_add_co_u32 v1, vcc_lo, s12, v1
	v_add_co_ci_u32_e32 v2, vcc_lo, s13, v2, vcc_lo
	v_add_co_u32 v5, vcc_lo, s12, v5
	v_add_co_ci_u32_e32 v6, vcc_lo, s13, v6, vcc_lo
	v_add_co_u32 v1, vcc_lo, 0x1000, v1
	v_lshlrev_b64 v[9:10], 4, v[3:4]
	v_add_co_ci_u32_e32 v2, vcc_lo, 0, v2, vcc_lo
	v_add_co_u32 v5, vcc_lo, 0x1000, v5
	v_lshlrev_b64 v[79:80], 4, v[56:57]
	v_add_co_ci_u32_e32 v6, vcc_lo, 0, v6, vcc_lo
	v_add_co_u32 v9, vcc_lo, s12, v9
	v_add_co_ci_u32_e32 v10, vcc_lo, s13, v10, vcc_lo
	v_add_co_u32 v11, vcc_lo, s12, v79
	;; [unrolled: 2-line block ×5, first 2 shown]
	v_add_co_ci_u32_e32 v22, vcc_lo, 0, v12, vcc_lo
	s_clause 0x5
	global_load_dwordx4 v[1:4], v[1:2], off offset:688
	global_load_dwordx4 v[5:8], v[5:6], off offset:688
	;; [unrolled: 1-line block ×6, first 2 shown]
	ds_read_b128 v[25:28], v0 offset:4160
	ds_read_b128 v[29:32], v0 offset:3328
	;; [unrolled: 1-line block ×10, first 2 shown]
	v_lshrrev_b32_e32 v71, 3, v78
	v_lshrrev_b32_e32 v72, 3, v49
	v_add3_u32 v82, v82, v70, v51
	v_lshlrev_b64 v[51:52], 4, v[52:53]
	v_mov_b32_e32 v83, v50
	v_mul_hi_u32 v84, 0x1a41a41b, v71
	v_mul_hi_u32 v85, 0x1a41a41b, v72
	ds_read_b128 v[70:73], v0 offset:832
	ds_read_b128 v[74:77], v0
	v_lshlrev_b64 v[81:82], 4, v[81:82]
	v_lshrrev_b32_e32 v0, 2, v84
	v_lshrrev_b32_e32 v96, 2, v85
	v_mad_u32_u24 v49, 0x138, v96, v49
	v_lshlrev_b64 v[49:50], 4, v[49:50]
	s_waitcnt vmcnt(3) lgkmcnt(7)
	v_mul_f64 v[88:89], v[11:12], v[41:42]
	v_mul_f64 v[84:85], v[3:4], v[33:34]
	;; [unrolled: 1-line block ×5, first 2 shown]
	s_waitcnt vmcnt(0) lgkmcnt(4)
	v_mul_f64 v[94:95], v[23:24], v[58:59]
	v_mul_f64 v[58:59], v[21:22], v[58:59]
	;; [unrolled: 1-line block ×7, first 2 shown]
	v_add_co_u32 v55, vcc_lo, s10, v81
	v_add_co_ci_u32_e32 v81, vcc_lo, s11, v82, vcc_lo
	v_mad_u32_u24 v82, 0x138, v0, v78
	v_add_co_u32 v78, vcc_lo, v55, v51
	v_add_co_ci_u32_e32 v81, vcc_lo, v81, v52, vcc_lo
	v_add_co_u32 v51, vcc_lo, v78, v79
	v_fma_f64 v[0:1], v[1:2], v[35:36], -v[84:85]
	v_fma_f64 v[33:34], v[35:36], v[3:4], v[33:34]
	v_fma_f64 v[4:5], v[5:6], v[39:40], -v[86:87]
	v_fma_f64 v[35:36], v[39:40], v[7:8], v[37:38]
	;; [unrolled: 2-line block ×3, first 2 shown]
	v_fma_f64 v[37:38], v[43:44], v[11:12], v[41:42]
	v_fma_f64 v[17:18], v[17:18], v[56:57], -v[92:93]
	v_fma_f64 v[41:42], v[56:57], v[19:20], v[53:54]
	v_fma_f64 v[8:9], v[9:10], v[43:44], -v[88:89]
	v_fma_f64 v[12:13], v[13:14], v[47:48], -v[90:91]
	v_fma_f64 v[43:44], v[47:48], v[15:16], v[45:46]
	v_add_co_ci_u32_e32 v52, vcc_lo, v81, v80, vcc_lo
	v_add_co_u32 v53, vcc_lo, 0x1000, v51
	v_lshlrev_b64 v[45:46], 4, v[82:83]
	v_add_co_ci_u32_e32 v54, vcc_lo, 0, v52, vcc_lo
	v_add_co_u32 v55, vcc_lo, 0x1800, v51
	v_add_co_ci_u32_e32 v56, vcc_lo, 0, v52, vcc_lo
	v_add_f64 v[2:3], v[27:28], -v[0:1]
	v_add_f64 v[6:7], v[31:32], -v[4:5]
	;; [unrolled: 1-line block ×3, first 2 shown]
	s_waitcnt lgkmcnt(0)
	v_add_f64 v[22:23], v[76:77], -v[21:22]
	v_add_f64 v[20:21], v[74:75], -v[39:40]
	;; [unrolled: 1-line block ×9, first 2 shown]
	v_add_co_u32 v57, vcc_lo, 0x800, v51
	v_add_co_ci_u32_e32 v58, vcc_lo, 0, v52, vcc_lo
	v_add_co_u32 v59, vcc_lo, v78, v45
	v_add_co_ci_u32_e32 v60, vcc_lo, v81, v46, vcc_lo
	v_add_co_u32 v49, vcc_lo, v78, v49
	v_fma_f64 v[27:28], v[27:28], 2.0, -v[2:3]
	v_fma_f64 v[31:32], v[31:32], 2.0, -v[6:7]
	;; [unrolled: 1-line block ×12, first 2 shown]
	v_add_co_ci_u32_e32 v50, vcc_lo, v81, v50, vcc_lo
	v_add_co_u32 v61, vcc_lo, 0x1000, v59
	v_add_co_ci_u32_e32 v62, vcc_lo, 0, v60, vcc_lo
	v_add_co_u32 v63, vcc_lo, 0x1000, v49
	v_add_co_ci_u32_e32 v64, vcc_lo, 0, v50, vcc_lo
	global_store_dwordx4 v[53:54], v[20:23], off offset:896
	global_store_dwordx4 v[53:54], v[16:19], off offset:1728
	;; [unrolled: 1-line block ×5, first 2 shown]
	global_store_dwordx4 v[51:52], v[45:48], off
	global_store_dwordx4 v[51:52], v[41:44], off offset:832
	global_store_dwordx4 v[51:52], v[37:40], off offset:1664
	;; [unrolled: 1-line block ×3, first 2 shown]
	global_store_dwordx4 v[59:60], v[29:32], off
	global_store_dwordx4 v[49:50], v[25:28], off
	global_store_dwordx4 v[63:64], v[0:3], off offset:896
.LBB0_15:
	s_endpgm
	.section	.rodata,"a",@progbits
	.p2align	6, 0x0
	.amdhsa_kernel fft_rtc_back_len624_factors_13_4_6_2_wgs_52_tpt_52_dp_op_CI_CI_unitstride_sbrr_dirReg
		.amdhsa_group_segment_fixed_size 0
		.amdhsa_private_segment_fixed_size 0
		.amdhsa_kernarg_size 104
		.amdhsa_user_sgpr_count 6
		.amdhsa_user_sgpr_private_segment_buffer 1
		.amdhsa_user_sgpr_dispatch_ptr 0
		.amdhsa_user_sgpr_queue_ptr 0
		.amdhsa_user_sgpr_kernarg_segment_ptr 1
		.amdhsa_user_sgpr_dispatch_id 0
		.amdhsa_user_sgpr_flat_scratch_init 0
		.amdhsa_user_sgpr_private_segment_size 0
		.amdhsa_wavefront_size32 1
		.amdhsa_uses_dynamic_stack 0
		.amdhsa_system_sgpr_private_segment_wavefront_offset 0
		.amdhsa_system_sgpr_workgroup_id_x 1
		.amdhsa_system_sgpr_workgroup_id_y 0
		.amdhsa_system_sgpr_workgroup_id_z 0
		.amdhsa_system_sgpr_workgroup_info 0
		.amdhsa_system_vgpr_workitem_id 0
		.amdhsa_next_free_vgpr 131
		.amdhsa_next_free_sgpr 44
		.amdhsa_reserve_vcc 1
		.amdhsa_reserve_flat_scratch 0
		.amdhsa_float_round_mode_32 0
		.amdhsa_float_round_mode_16_64 0
		.amdhsa_float_denorm_mode_32 3
		.amdhsa_float_denorm_mode_16_64 3
		.amdhsa_dx10_clamp 1
		.amdhsa_ieee_mode 1
		.amdhsa_fp16_overflow 0
		.amdhsa_workgroup_processor_mode 1
		.amdhsa_memory_ordered 1
		.amdhsa_forward_progress 0
		.amdhsa_shared_vgpr_count 0
		.amdhsa_exception_fp_ieee_invalid_op 0
		.amdhsa_exception_fp_denorm_src 0
		.amdhsa_exception_fp_ieee_div_zero 0
		.amdhsa_exception_fp_ieee_overflow 0
		.amdhsa_exception_fp_ieee_underflow 0
		.amdhsa_exception_fp_ieee_inexact 0
		.amdhsa_exception_int_div_zero 0
	.end_amdhsa_kernel
	.text
.Lfunc_end0:
	.size	fft_rtc_back_len624_factors_13_4_6_2_wgs_52_tpt_52_dp_op_CI_CI_unitstride_sbrr_dirReg, .Lfunc_end0-fft_rtc_back_len624_factors_13_4_6_2_wgs_52_tpt_52_dp_op_CI_CI_unitstride_sbrr_dirReg
                                        ; -- End function
	.section	.AMDGPU.csdata,"",@progbits
; Kernel info:
; codeLenInByte = 9112
; NumSgprs: 46
; NumVgprs: 131
; ScratchSize: 0
; MemoryBound: 1
; FloatMode: 240
; IeeeMode: 1
; LDSByteSize: 0 bytes/workgroup (compile time only)
; SGPRBlocks: 5
; VGPRBlocks: 16
; NumSGPRsForWavesPerEU: 46
; NumVGPRsForWavesPerEU: 131
; Occupancy: 7
; WaveLimiterHint : 1
; COMPUTE_PGM_RSRC2:SCRATCH_EN: 0
; COMPUTE_PGM_RSRC2:USER_SGPR: 6
; COMPUTE_PGM_RSRC2:TRAP_HANDLER: 0
; COMPUTE_PGM_RSRC2:TGID_X_EN: 1
; COMPUTE_PGM_RSRC2:TGID_Y_EN: 0
; COMPUTE_PGM_RSRC2:TGID_Z_EN: 0
; COMPUTE_PGM_RSRC2:TIDIG_COMP_CNT: 0
	.text
	.p2alignl 6, 3214868480
	.fill 48, 4, 3214868480
	.type	__hip_cuid_bb966a38d005d746,@object ; @__hip_cuid_bb966a38d005d746
	.section	.bss,"aw",@nobits
	.globl	__hip_cuid_bb966a38d005d746
__hip_cuid_bb966a38d005d746:
	.byte	0                               ; 0x0
	.size	__hip_cuid_bb966a38d005d746, 1

	.ident	"AMD clang version 19.0.0git (https://github.com/RadeonOpenCompute/llvm-project roc-6.4.0 25133 c7fe45cf4b819c5991fe208aaa96edf142730f1d)"
	.section	".note.GNU-stack","",@progbits
	.addrsig
	.addrsig_sym __hip_cuid_bb966a38d005d746
	.amdgpu_metadata
---
amdhsa.kernels:
  - .args:
      - .actual_access:  read_only
        .address_space:  global
        .offset:         0
        .size:           8
        .value_kind:     global_buffer
      - .offset:         8
        .size:           8
        .value_kind:     by_value
      - .actual_access:  read_only
        .address_space:  global
        .offset:         16
        .size:           8
        .value_kind:     global_buffer
      - .actual_access:  read_only
        .address_space:  global
        .offset:         24
        .size:           8
        .value_kind:     global_buffer
      - .actual_access:  read_only
        .address_space:  global
        .offset:         32
        .size:           8
        .value_kind:     global_buffer
      - .offset:         40
        .size:           8
        .value_kind:     by_value
      - .actual_access:  read_only
        .address_space:  global
        .offset:         48
        .size:           8
        .value_kind:     global_buffer
      - .actual_access:  read_only
        .address_space:  global
        .offset:         56
        .size:           8
        .value_kind:     global_buffer
      - .offset:         64
        .size:           4
        .value_kind:     by_value
      - .actual_access:  read_only
        .address_space:  global
        .offset:         72
        .size:           8
        .value_kind:     global_buffer
      - .actual_access:  read_only
        .address_space:  global
        .offset:         80
        .size:           8
        .value_kind:     global_buffer
      - .actual_access:  read_only
        .address_space:  global
        .offset:         88
        .size:           8
        .value_kind:     global_buffer
      - .actual_access:  write_only
        .address_space:  global
        .offset:         96
        .size:           8
        .value_kind:     global_buffer
    .group_segment_fixed_size: 0
    .kernarg_segment_align: 8
    .kernarg_segment_size: 104
    .language:       OpenCL C
    .language_version:
      - 2
      - 0
    .max_flat_workgroup_size: 52
    .name:           fft_rtc_back_len624_factors_13_4_6_2_wgs_52_tpt_52_dp_op_CI_CI_unitstride_sbrr_dirReg
    .private_segment_fixed_size: 0
    .sgpr_count:     46
    .sgpr_spill_count: 0
    .symbol:         fft_rtc_back_len624_factors_13_4_6_2_wgs_52_tpt_52_dp_op_CI_CI_unitstride_sbrr_dirReg.kd
    .uniform_work_group_size: 1
    .uses_dynamic_stack: false
    .vgpr_count:     131
    .vgpr_spill_count: 0
    .wavefront_size: 32
    .workgroup_processor_mode: 1
amdhsa.target:   amdgcn-amd-amdhsa--gfx1030
amdhsa.version:
  - 1
  - 2
...

	.end_amdgpu_metadata
